;; amdgpu-corpus repo=ROCm/rocFFT kind=compiled arch=gfx1030 opt=O3
	.text
	.amdgcn_target "amdgcn-amd-amdhsa--gfx1030"
	.amdhsa_code_object_version 6
	.protected	fft_rtc_back_len156_factors_3_4_13_wgs_117_tpt_13_dp_ip_CI_sbrr_dirReg ; -- Begin function fft_rtc_back_len156_factors_3_4_13_wgs_117_tpt_13_dp_ip_CI_sbrr_dirReg
	.globl	fft_rtc_back_len156_factors_3_4_13_wgs_117_tpt_13_dp_ip_CI_sbrr_dirReg
	.p2align	8
	.type	fft_rtc_back_len156_factors_3_4_13_wgs_117_tpt_13_dp_ip_CI_sbrr_dirReg,@function
fft_rtc_back_len156_factors_3_4_13_wgs_117_tpt_13_dp_ip_CI_sbrr_dirReg: ; @fft_rtc_back_len156_factors_3_4_13_wgs_117_tpt_13_dp_ip_CI_sbrr_dirReg
; %bb.0:
	s_clause 0x1
	s_load_dwordx2 s[14:15], s[4:5], 0x18
	s_load_dwordx4 s[8:11], s[4:5], 0x0
	v_mul_u32_u24_e32 v1, 0x13b2, v0
	v_mov_b32_e32 v3, 0
	s_load_dwordx2 s[12:13], s[4:5], 0x50
	s_waitcnt lgkmcnt(0)
	s_load_dwordx2 s[2:3], s[14:15], 0x0
	v_lshrrev_b32_e32 v1, 16, v1
	v_cmp_lt_u64_e64 s0, s[10:11], 2
	v_mad_u64_u32 v[48:49], null, s6, 9, v[1:2]
	v_mov_b32_e32 v49, v3
	v_mov_b32_e32 v1, 0
	;; [unrolled: 1-line block ×3, first 2 shown]
	s_and_b32 vcc_lo, exec_lo, s0
	v_mov_b32_e32 v7, v48
	v_mov_b32_e32 v8, v49
	s_cbranch_vccnz .LBB0_8
; %bb.1:
	s_load_dwordx2 s[0:1], s[4:5], 0x10
	v_mov_b32_e32 v1, 0
	v_mov_b32_e32 v5, v48
	s_add_u32 s6, s14, 8
	v_mov_b32_e32 v2, 0
	v_mov_b32_e32 v6, v49
	s_addc_u32 s7, s15, 0
	s_mov_b64 s[18:19], 1
	s_waitcnt lgkmcnt(0)
	s_add_u32 s16, s0, 8
	s_addc_u32 s17, s1, 0
.LBB0_2:                                ; =>This Inner Loop Header: Depth=1
	s_load_dwordx2 s[20:21], s[16:17], 0x0
                                        ; implicit-def: $vgpr7_vgpr8
	s_mov_b32 s0, exec_lo
	s_waitcnt lgkmcnt(0)
	v_or_b32_e32 v4, s21, v6
	v_cmpx_ne_u64_e32 0, v[3:4]
	s_xor_b32 s1, exec_lo, s0
	s_cbranch_execz .LBB0_4
; %bb.3:                                ;   in Loop: Header=BB0_2 Depth=1
	v_cvt_f32_u32_e32 v4, s20
	v_cvt_f32_u32_e32 v7, s21
	s_sub_u32 s0, 0, s20
	s_subb_u32 s22, 0, s21
	v_fmac_f32_e32 v4, 0x4f800000, v7
	v_rcp_f32_e32 v4, v4
	v_mul_f32_e32 v4, 0x5f7ffffc, v4
	v_mul_f32_e32 v7, 0x2f800000, v4
	v_trunc_f32_e32 v7, v7
	v_fmac_f32_e32 v4, 0xcf800000, v7
	v_cvt_u32_f32_e32 v7, v7
	v_cvt_u32_f32_e32 v4, v4
	v_mul_lo_u32 v8, s0, v7
	v_mul_hi_u32 v9, s0, v4
	v_mul_lo_u32 v10, s22, v4
	v_add_nc_u32_e32 v8, v9, v8
	v_mul_lo_u32 v9, s0, v4
	v_add_nc_u32_e32 v8, v8, v10
	v_mul_hi_u32 v10, v4, v9
	v_mul_lo_u32 v11, v4, v8
	v_mul_hi_u32 v12, v4, v8
	v_mul_hi_u32 v13, v7, v9
	v_mul_lo_u32 v9, v7, v9
	v_mul_hi_u32 v14, v7, v8
	v_mul_lo_u32 v8, v7, v8
	v_add_co_u32 v10, vcc_lo, v10, v11
	v_add_co_ci_u32_e32 v11, vcc_lo, 0, v12, vcc_lo
	v_add_co_u32 v9, vcc_lo, v10, v9
	v_add_co_ci_u32_e32 v9, vcc_lo, v11, v13, vcc_lo
	v_add_co_ci_u32_e32 v10, vcc_lo, 0, v14, vcc_lo
	v_add_co_u32 v8, vcc_lo, v9, v8
	v_add_co_ci_u32_e32 v9, vcc_lo, 0, v10, vcc_lo
	v_add_co_u32 v4, vcc_lo, v4, v8
	v_add_co_ci_u32_e32 v7, vcc_lo, v7, v9, vcc_lo
	v_mul_hi_u32 v8, s0, v4
	v_mul_lo_u32 v10, s22, v4
	v_mul_lo_u32 v9, s0, v7
	v_add_nc_u32_e32 v8, v8, v9
	v_mul_lo_u32 v9, s0, v4
	v_add_nc_u32_e32 v8, v8, v10
	v_mul_hi_u32 v10, v4, v9
	v_mul_lo_u32 v11, v4, v8
	v_mul_hi_u32 v12, v4, v8
	v_mul_hi_u32 v13, v7, v9
	v_mul_lo_u32 v9, v7, v9
	v_mul_hi_u32 v14, v7, v8
	v_mul_lo_u32 v8, v7, v8
	v_add_co_u32 v10, vcc_lo, v10, v11
	v_add_co_ci_u32_e32 v11, vcc_lo, 0, v12, vcc_lo
	v_add_co_u32 v9, vcc_lo, v10, v9
	v_add_co_ci_u32_e32 v9, vcc_lo, v11, v13, vcc_lo
	v_add_co_ci_u32_e32 v10, vcc_lo, 0, v14, vcc_lo
	v_add_co_u32 v8, vcc_lo, v9, v8
	v_add_co_ci_u32_e32 v9, vcc_lo, 0, v10, vcc_lo
	v_add_co_u32 v4, vcc_lo, v4, v8
	v_add_co_ci_u32_e32 v11, vcc_lo, v7, v9, vcc_lo
	v_mul_hi_u32 v13, v5, v4
	v_mad_u64_u32 v[9:10], null, v6, v4, 0
	v_mad_u64_u32 v[7:8], null, v5, v11, 0
	v_mad_u64_u32 v[11:12], null, v6, v11, 0
	v_add_co_u32 v4, vcc_lo, v13, v7
	v_add_co_ci_u32_e32 v7, vcc_lo, 0, v8, vcc_lo
	v_add_co_u32 v4, vcc_lo, v4, v9
	v_add_co_ci_u32_e32 v4, vcc_lo, v7, v10, vcc_lo
	v_add_co_ci_u32_e32 v7, vcc_lo, 0, v12, vcc_lo
	v_add_co_u32 v4, vcc_lo, v4, v11
	v_add_co_ci_u32_e32 v9, vcc_lo, 0, v7, vcc_lo
	v_mul_lo_u32 v10, s21, v4
	v_mad_u64_u32 v[7:8], null, s20, v4, 0
	v_mul_lo_u32 v11, s20, v9
	v_sub_co_u32 v7, vcc_lo, v5, v7
	v_add3_u32 v8, v8, v11, v10
	v_sub_nc_u32_e32 v10, v6, v8
	v_subrev_co_ci_u32_e64 v10, s0, s21, v10, vcc_lo
	v_add_co_u32 v11, s0, v4, 2
	v_add_co_ci_u32_e64 v12, s0, 0, v9, s0
	v_sub_co_u32 v13, s0, v7, s20
	v_sub_co_ci_u32_e32 v8, vcc_lo, v6, v8, vcc_lo
	v_subrev_co_ci_u32_e64 v10, s0, 0, v10, s0
	v_cmp_le_u32_e32 vcc_lo, s20, v13
	v_cmp_eq_u32_e64 s0, s21, v8
	v_cndmask_b32_e64 v13, 0, -1, vcc_lo
	v_cmp_le_u32_e32 vcc_lo, s21, v10
	v_cndmask_b32_e64 v14, 0, -1, vcc_lo
	v_cmp_le_u32_e32 vcc_lo, s20, v7
	;; [unrolled: 2-line block ×3, first 2 shown]
	v_cndmask_b32_e64 v15, 0, -1, vcc_lo
	v_cmp_eq_u32_e32 vcc_lo, s21, v10
	v_cndmask_b32_e64 v7, v15, v7, s0
	v_cndmask_b32_e32 v10, v14, v13, vcc_lo
	v_add_co_u32 v13, vcc_lo, v4, 1
	v_add_co_ci_u32_e32 v14, vcc_lo, 0, v9, vcc_lo
	v_cmp_ne_u32_e32 vcc_lo, 0, v10
	v_cndmask_b32_e32 v8, v14, v12, vcc_lo
	v_cndmask_b32_e32 v10, v13, v11, vcc_lo
	v_cmp_ne_u32_e32 vcc_lo, 0, v7
	v_cndmask_b32_e32 v8, v9, v8, vcc_lo
	v_cndmask_b32_e32 v7, v4, v10, vcc_lo
.LBB0_4:                                ;   in Loop: Header=BB0_2 Depth=1
	s_andn2_saveexec_b32 s0, s1
	s_cbranch_execz .LBB0_6
; %bb.5:                                ;   in Loop: Header=BB0_2 Depth=1
	v_cvt_f32_u32_e32 v4, s20
	s_sub_i32 s1, 0, s20
	v_rcp_iflag_f32_e32 v4, v4
	v_mul_f32_e32 v4, 0x4f7ffffe, v4
	v_cvt_u32_f32_e32 v4, v4
	v_mul_lo_u32 v7, s1, v4
	v_mul_hi_u32 v7, v4, v7
	v_add_nc_u32_e32 v4, v4, v7
	v_mul_hi_u32 v4, v5, v4
	v_mul_lo_u32 v7, v4, s20
	v_add_nc_u32_e32 v8, 1, v4
	v_sub_nc_u32_e32 v7, v5, v7
	v_subrev_nc_u32_e32 v9, s20, v7
	v_cmp_le_u32_e32 vcc_lo, s20, v7
	v_cndmask_b32_e32 v7, v7, v9, vcc_lo
	v_cndmask_b32_e32 v4, v4, v8, vcc_lo
	v_cmp_le_u32_e32 vcc_lo, s20, v7
	v_add_nc_u32_e32 v8, 1, v4
	v_cndmask_b32_e32 v7, v4, v8, vcc_lo
	v_mov_b32_e32 v8, v3
.LBB0_6:                                ;   in Loop: Header=BB0_2 Depth=1
	s_or_b32 exec_lo, exec_lo, s0
	s_load_dwordx2 s[0:1], s[6:7], 0x0
	v_mul_lo_u32 v4, v8, s20
	v_mul_lo_u32 v11, v7, s21
	v_mad_u64_u32 v[9:10], null, v7, s20, 0
	s_add_u32 s18, s18, 1
	s_addc_u32 s19, s19, 0
	s_add_u32 s6, s6, 8
	s_addc_u32 s7, s7, 0
	s_add_u32 s16, s16, 8
	s_addc_u32 s17, s17, 0
	v_add3_u32 v4, v10, v11, v4
	v_sub_co_u32 v5, vcc_lo, v5, v9
	v_sub_co_ci_u32_e32 v4, vcc_lo, v6, v4, vcc_lo
	s_waitcnt lgkmcnt(0)
	v_mul_lo_u32 v6, s1, v5
	v_mul_lo_u32 v4, s0, v4
	v_mad_u64_u32 v[1:2], null, s0, v5, v[1:2]
	v_cmp_ge_u64_e64 s0, s[18:19], s[10:11]
	s_and_b32 vcc_lo, exec_lo, s0
	v_add3_u32 v2, v6, v2, v4
	s_cbranch_vccnz .LBB0_8
; %bb.7:                                ;   in Loop: Header=BB0_2 Depth=1
	v_mov_b32_e32 v5, v7
	v_mov_b32_e32 v6, v8
	s_branch .LBB0_2
.LBB0_8:
	s_lshl_b64 s[0:1], s[10:11], 3
	v_mul_hi_u32 v3, 0x13b13b14, v0
	s_add_u32 s0, s14, s0
	s_addc_u32 s1, s15, s1
	s_load_dwordx2 s[4:5], s[4:5], 0x20
	s_load_dwordx2 s[0:1], s[0:1], 0x0
	v_mul_u32_u24_e32 v3, 13, v3
	v_sub_nc_u32_e32 v94, v0, v3
	v_add_nc_u32_e32 v50, 13, v94
	v_add_nc_u32_e32 v49, 26, v94
	;; [unrolled: 1-line block ×3, first 2 shown]
	s_waitcnt lgkmcnt(0)
	v_cmp_gt_u64_e32 vcc_lo, s[4:5], v[7:8]
	v_mul_lo_u32 v3, s0, v8
	v_mul_lo_u32 v4, s1, v7
	v_mad_u64_u32 v[0:1], null, s0, v7, v[1:2]
	v_cmp_le_u64_e64 s0, s[4:5], v[7:8]
	v_add3_u32 v1, v4, v1, v3
	s_and_saveexec_b32 s1, s0
	s_xor_b32 s0, exec_lo, s1
; %bb.9:
	v_add_nc_u32_e32 v50, 13, v94
	v_add_nc_u32_e32 v49, 26, v94
	;; [unrolled: 1-line block ×3, first 2 shown]
; %bb.10:
	s_or_saveexec_b32 s1, s0
	v_lshlrev_b64 v[52:53], 4, v[0:1]
                                        ; implicit-def: $vgpr22_vgpr23
                                        ; implicit-def: $vgpr6_vgpr7
                                        ; implicit-def: $vgpr18_vgpr19
                                        ; implicit-def: $vgpr34_vgpr35
                                        ; implicit-def: $vgpr26_vgpr27
                                        ; implicit-def: $vgpr30_vgpr31
                                        ; implicit-def: $vgpr2_vgpr3
                                        ; implicit-def: $vgpr38_vgpr39
                                        ; implicit-def: $vgpr46_vgpr47
                                        ; implicit-def: $vgpr42_vgpr43
                                        ; implicit-def: $vgpr10_vgpr11
                                        ; implicit-def: $vgpr14_vgpr15
	s_xor_b32 exec_lo, exec_lo, s1
	s_cbranch_execz .LBB0_12
; %bb.11:
	v_add_nc_u32_e32 v9, 52, v94
	v_mad_u64_u32 v[0:1], null, s2, v94, 0
	v_add_nc_u32_e32 v11, 0x68, v94
	v_add_nc_u32_e32 v12, 0x75, v94
	v_mad_u64_u32 v[2:3], null, s2, v9, 0
	v_add_co_u32 v36, s0, s12, v52
	v_mad_u64_u32 v[4:5], null, s2, v11, 0
	v_add_co_ci_u32_e64 v37, s0, s13, v53, s0
	v_mad_u64_u32 v[6:7], null, s3, v94, v[1:2]
	v_mov_b32_e32 v1, v3
	v_mad_u64_u32 v[7:8], null, s2, v50, 0
	v_mad_u64_u32 v[18:19], null, s2, v12, 0
	;; [unrolled: 1-line block ×3, first 2 shown]
	v_mov_b32_e32 v1, v6
	v_mad_u64_u32 v[5:6], null, s3, v11, v[5:6]
	v_mov_b32_e32 v6, v8
	v_add_nc_u32_e32 v10, 0x41, v94
	v_lshlrev_b64 v[0:1], 4, v[0:1]
	v_mov_b32_e32 v3, v9
	v_mad_u64_u32 v[24:25], null, s2, v49, 0
	v_mad_u64_u32 v[8:9], null, s3, v50, v[6:7]
	;; [unrolled: 1-line block ×3, first 2 shown]
	v_lshlrev_b64 v[2:3], 4, v[2:3]
	v_add_co_u32 v0, s0, v36, v0
	v_lshlrev_b64 v[4:5], 4, v[4:5]
	v_lshlrev_b64 v[7:8], 4, v[7:8]
	v_add_co_ci_u32_e64 v1, s0, v37, v1, s0
	v_mov_b32_e32 v6, v17
	v_add_co_u32 v2, s0, v36, v2
	v_add_co_ci_u32_e64 v3, s0, v37, v3, s0
	v_mad_u64_u32 v[9:10], null, s3, v10, v[6:7]
	v_add_co_u32 v4, s0, v36, v4
	v_mov_b32_e32 v6, v19
	v_add_co_ci_u32_e64 v5, s0, v37, v5, s0
	v_add_co_u32 v10, s0, v36, v7
	v_add_co_ci_u32_e64 v11, s0, v37, v8, s0
	v_mad_u64_u32 v[19:20], null, s3, v12, v[6:7]
	v_mov_b32_e32 v17, v9
	s_clause 0x3
	global_load_dwordx4 v[12:15], v[0:1], off
	global_load_dwordx4 v[20:23], v[2:3], off
	;; [unrolled: 1-line block ×4, first 2 shown]
	v_add_nc_u32_e32 v30, 0x4e, v94
	v_mov_b32_e32 v2, v25
	v_add_nc_u32_e32 v32, 0x82, v94
	v_lshlrev_b64 v[0:1], 4, v[16:17]
	v_lshlrev_b64 v[16:17], 4, v[18:19]
	v_mad_u64_u32 v[26:27], null, s2, v30, 0
	v_mad_u64_u32 v[2:3], null, s3, v49, v[2:3]
	v_add_co_u32 v0, s0, v36, v0
	v_mad_u64_u32 v[28:29], null, s2, v32, 0
	v_mov_b32_e32 v3, v27
	v_add_co_ci_u32_e64 v1, s0, v37, v1, s0
	v_add_co_u32 v16, s0, v36, v16
	v_add_co_ci_u32_e64 v17, s0, v37, v17, s0
	v_mov_b32_e32 v25, v2
	v_add_nc_u32_e32 v35, 0x5b, v94
	s_clause 0x1
	global_load_dwordx4 v[40:43], v[0:1], off
	global_load_dwordx4 v[16:19], v[16:17], off
	v_mov_b32_e32 v0, v29
	v_add_nc_u32_e32 v38, 0x8f, v94
	v_lshlrev_b64 v[24:25], 4, v[24:25]
	v_mad_u64_u32 v[0:1], null, s3, v32, v[0:1]
	v_add_co_u32 v24, s0, v36, v24
	v_add_co_ci_u32_e64 v25, s0, v37, v25, s0
	v_mov_b32_e32 v29, v0
	v_lshlrev_b64 v[28:29], 4, v[28:29]
	s_waitcnt vmcnt(3)
	v_mad_u64_u32 v[30:31], null, s3, v30, v[3:4]
	v_mad_u64_u32 v[2:3], null, s2, v51, 0
	v_mov_b32_e32 v27, v30
	v_mad_u64_u32 v[30:31], null, s2, v35, 0
	v_mov_b32_e32 v1, v3
	v_lshlrev_b64 v[26:27], 4, v[26:27]
	v_mad_u64_u32 v[32:33], null, s3, v51, v[1:2]
	v_mad_u64_u32 v[33:34], null, s2, v38, 0
	v_mov_b32_e32 v1, v31
	v_add_co_u32 v26, s0, v36, v26
	v_add_co_ci_u32_e64 v27, s0, v37, v27, s0
	v_mad_u64_u32 v[0:1], null, s3, v35, v[1:2]
	v_mov_b32_e32 v3, v32
	v_mov_b32_e32 v1, v34
	v_add_co_u32 v28, s0, v36, v28
	v_add_co_ci_u32_e64 v29, s0, v37, v29, s0
	v_mad_u64_u32 v[34:35], null, s3, v38, v[1:2]
	v_lshlrev_b64 v[1:2], 4, v[2:3]
	v_mov_b32_e32 v31, v0
	v_lshlrev_b64 v[30:31], 4, v[30:31]
	v_add_co_u32 v0, s0, v36, v1
	v_add_co_ci_u32_e64 v1, s0, v37, v2, s0
	v_lshlrev_b64 v[2:3], 4, v[33:34]
	v_add_co_u32 v30, s0, v36, v30
	v_add_co_ci_u32_e64 v31, s0, v37, v31, s0
	v_add_co_u32 v2, s0, v36, v2
	v_add_co_ci_u32_e64 v3, s0, v37, v3, s0
	s_clause 0x5
	global_load_dwordx4 v[32:35], v[24:25], off
	global_load_dwordx4 v[44:47], v[26:27], off
	;; [unrolled: 1-line block ×6, first 2 shown]
.LBB0_12:
	s_or_b32 exec_lo, exec_lo, s1
	v_add_f64 v[54:55], v[20:21], v[4:5]
	v_add_f64 v[56:57], v[20:21], v[12:13]
	;; [unrolled: 1-line block ×3, first 2 shown]
	v_add_f64 v[60:61], v[22:23], -v[6:7]
	v_add_f64 v[22:23], v[22:23], v[6:7]
	v_add_f64 v[62:63], v[20:21], -v[4:5]
	s_waitcnt vmcnt(6)
	v_add_f64 v[20:21], v[16:17], v[40:41]
	v_add_f64 v[68:69], v[18:19], v[42:43]
	s_waitcnt vmcnt(3)
	v_add_f64 v[70:71], v[36:37], v[44:45]
	v_add_f64 v[72:73], v[38:39], v[46:47]
	;; [unrolled: 1-line block ×3, first 2 shown]
	v_mul_hi_u32 v88, 0x38e38e39, v48
	s_waitcnt vmcnt(0)
	v_add_f64 v[80:81], v[30:31], v[2:3]
	v_add_f64 v[66:67], v[42:43], v[10:11]
	v_add_f64 v[42:43], v[42:43], -v[18:19]
	v_add_f64 v[40:41], v[40:41], -v[16:17]
	v_add_f64 v[78:79], v[28:29], v[0:1]
	v_add_f64 v[84:85], v[26:27], v[30:31]
	;; [unrolled: 1-line block ×3, first 2 shown]
	s_mov_b32 s0, 0xe8584caa
	v_add_f64 v[76:77], v[34:35], v[46:47]
	v_add_f64 v[44:45], v[44:45], -v[36:37]
	v_fma_f64 v[54:55], v[54:55], -0.5, v[12:13]
	s_mov_b32 s1, 0xbfebb67a
	s_mov_b32 s5, 0x3febb67a
	s_mov_b32 s4, s0
	v_fma_f64 v[22:23], v[22:23], -0.5, v[14:15]
	v_add_f64 v[4:5], v[4:5], v[56:57]
	v_fma_f64 v[86:87], v[20:21], -0.5, v[8:9]
	v_lshrrev_b32_e32 v8, 1, v88
	v_add_f64 v[88:89], v[30:31], -v[2:3]
	v_fma_f64 v[30:31], v[68:69], -0.5, v[10:11]
	v_fma_f64 v[68:69], v[70:71], -0.5, v[32:33]
	;; [unrolled: 1-line block ×3, first 2 shown]
	v_lshl_add_u32 v32, v8, 3, v8
	v_add_f64 v[8:9], v[16:17], v[64:65]
	v_add_f64 v[46:47], v[46:47], -v[38:39]
	v_add_f64 v[82:83], v[24:25], v[28:29]
	v_add_f64 v[6:7], v[6:7], v[58:59]
	;; [unrolled: 1-line block ×3, first 2 shown]
	v_fma_f64 v[58:59], v[78:79], -0.5, v[24:25]
	v_add_f64 v[12:13], v[36:37], v[74:75]
	v_add_f64 v[14:15], v[38:39], v[76:77]
	;; [unrolled: 1-line block ×3, first 2 shown]
	v_fma_f64 v[16:17], v[60:61], s[0:1], v[54:55]
	v_fma_f64 v[20:21], v[60:61], s[4:5], v[54:55]
	v_fma_f64 v[54:55], v[80:81], -0.5, v[26:27]
	v_sub_nc_u32_e32 v26, v48, v32
	v_fma_f64 v[18:19], v[62:63], s[4:5], v[22:23]
	v_add_f64 v[60:61], v[28:29], -v[0:1]
	v_fma_f64 v[24:25], v[42:43], s[0:1], v[86:87]
	v_fma_f64 v[22:23], v[62:63], s[0:1], v[22:23]
	v_mul_u32_u24_e32 v34, 0x9c, v26
	v_fma_f64 v[26:27], v[40:41], s[4:5], v[30:31]
	v_fma_f64 v[28:29], v[42:43], s[4:5], v[86:87]
	;; [unrolled: 1-line block ×3, first 2 shown]
	v_and_b32_e32 v40, 0xff, v94
	v_lshlrev_b32_e32 v48, 4, v34
	v_fma_f64 v[34:35], v[44:45], s[4:5], v[56:57]
	v_fma_f64 v[38:39], v[44:45], s[0:1], v[56:57]
	;; [unrolled: 1-line block ×3, first 2 shown]
	v_mul_lo_u16 v42, 0xab, v40
	v_add_nc_u32_e32 v107, 0, v48
	v_add_f64 v[0:1], v[82:83], v[0:1]
	v_fma_f64 v[36:37], v[46:47], s[4:5], v[68:69]
	v_fma_f64 v[40:41], v[88:89], s[0:1], v[58:59]
	v_lshrrev_b16 v108, 9, v42
	v_mad_u32_u24 v56, v94, 48, v107
	v_fma_f64 v[44:45], v[88:89], s[4:5], v[58:59]
	v_lshl_add_u32 v82, v50, 4, v107
	v_lshl_add_u32 v86, v49, 4, v107
	v_fma_f64 v[42:43], v[60:61], s[4:5], v[54:55]
	ds_write_b128 v56, v[4:7]
	v_mad_i32_i24 v4, v50, 48, v107
	v_mul_lo_u16 v5, v108, 3
	v_and_b32_e32 v7, 0xff, v50
	ds_write_b128 v56, v[16:19] offset:16
	ds_write_b128 v56, v[20:23] offset:32
	v_mad_i32_i24 v6, v49, 48, v107
	ds_write_b128 v4, v[8:11]
	v_sub_nc_u16 v109, v94, v5
	ds_write_b128 v4, v[24:27] offset:16
	ds_write_b128 v4, v[28:31] offset:32
	v_mul_lo_u16 v4, 0xab, v7
	v_and_b32_e32 v5, 0xff, v49
	v_mad_i32_i24 v8, v51, 48, v107
	v_fma_f64 v[46:47], v[60:61], s[0:1], v[54:55]
	ds_write_b128 v6, v[12:15]
	v_lshrrev_b16 v110, 9, v4
	v_mul_lo_u16 v4, 0xab, v5
	ds_write_b128 v6, v[32:35] offset:16
	ds_write_b128 v6, v[36:39] offset:32
	ds_write_b128 v8, v[0:3]
	v_mov_b32_e32 v12, 3
	v_mul_lo_u16 v5, v110, 3
	v_lshrrev_b16 v111, 9, v4
	v_mul_lo_u16 v7, v109, 3
	v_mov_b32_e32 v9, 4
	ds_write_b128 v8, v[40:43] offset:16
	v_sub_nc_u16 v112, v50, v5
	v_mul_lo_u16 v0, v111, 3
	v_cmp_gt_u32_e64 s0, 12, v94
	v_lshlrev_b32_sdwa v10, v9, v7 dst_sel:DWORD dst_unused:UNUSED_PAD src0_sel:DWORD src1_sel:BYTE_0
	v_mul_lo_u16 v11, v112, 3
	v_sub_nc_u16 v113, v49, v0
	v_lshlrev_b32_sdwa v9, v9, v11 dst_sel:DWORD dst_unused:UNUSED_PAD src0_sel:DWORD src1_sel:BYTE_0
	v_mul_u32_u24_sdwa v18, v113, v12 dst_sel:DWORD dst_unused:UNUSED_PAD src0_sel:BYTE_0 src1_sel:DWORD
	ds_write_b128 v8, v[44:47] offset:32
	s_waitcnt lgkmcnt(0)
	s_barrier
	buffer_gl0_inv
	v_lshlrev_b32_e32 v34, 4, v18
	s_clause 0x8
	global_load_dwordx4 v[0:3], v10, s[8:9]
	global_load_dwordx4 v[4:7], v10, s[8:9] offset:16
	global_load_dwordx4 v[10:13], v10, s[8:9] offset:32
	global_load_dwordx4 v[14:17], v9, s[8:9]
	global_load_dwordx4 v[18:21], v9, s[8:9] offset:16
	global_load_dwordx4 v[22:25], v9, s[8:9] offset:32
	;; [unrolled: 3-line block ×3, first 2 shown]
	v_lshlrev_b32_e32 v9, 5, v51
	v_lshlrev_b32_e32 v46, 4, v94
	v_sub_nc_u32_e32 v9, v8, v9
	v_add3_u32 v8, 0, v46, v48
	ds_read_b128 v[38:41], v9
	ds_read_b128 v[42:45], v8 offset:1248
	ds_read_b128 v[54:57], v8 offset:1872
	;; [unrolled: 1-line block ×8, first 2 shown]
	v_add_nc_u32_e32 v9, v107, v46
	ds_read_b128 v[46:49], v9
	ds_read_b128 v[82:85], v82
	;; [unrolled: 1-line block ×3, first 2 shown]
	s_waitcnt vmcnt(0) lgkmcnt(0)
	s_barrier
	buffer_gl0_inv
	v_mul_f64 v[97:98], v[64:65], v[20:21]
	v_mul_f64 v[50:51], v[40:41], v[2:3]
	;; [unrolled: 1-line block ×18, first 2 shown]
	v_fma_f64 v[38:39], v[38:39], v[0:1], v[50:51]
	v_fma_f64 v[0:1], v[40:41], v[0:1], -v[2:3]
	v_fma_f64 v[2:3], v[42:43], v[4:5], v[90:91]
	v_fma_f64 v[4:5], v[44:45], v[4:5], -v[6:7]
	;; [unrolled: 2-line block ×9, first 2 shown]
	v_add_f64 v[2:3], v[46:47], -v[2:3]
	v_add_f64 v[40:41], v[48:49], -v[4:5]
	;; [unrolled: 1-line block ×12, first 2 shown]
	v_fma_f64 v[32:33], v[46:47], 2.0, -v[2:3]
	v_fma_f64 v[34:35], v[48:49], 2.0, -v[40:41]
	;; [unrolled: 1-line block ×4, first 2 shown]
	v_add_f64 v[20:21], v[2:3], v[6:7]
	v_add_f64 v[22:23], v[40:41], -v[4:5]
	v_fma_f64 v[46:47], v[82:83], 2.0, -v[10:11]
	v_fma_f64 v[56:57], v[84:85], 2.0, -v[42:43]
	;; [unrolled: 1-line block ×4, first 2 shown]
	v_add_f64 v[36:37], v[10:11], v[18:19]
	v_fma_f64 v[58:59], v[86:87], 2.0, -v[44:45]
	v_fma_f64 v[60:61], v[88:89], 2.0, -v[54:55]
	;; [unrolled: 1-line block ×4, first 2 shown]
	v_add_f64 v[4:5], v[44:45], v[30:31]
	v_add_f64 v[6:7], v[54:55], -v[28:29]
	v_add_f64 v[12:13], v[32:33], -v[38:39]
	;; [unrolled: 1-line block ×4, first 2 shown]
	v_mov_b32_e32 v0, 12
	v_mul_lo_u16 v1, v108, 12
	v_add_f64 v[48:49], v[46:47], -v[48:49]
	v_add_f64 v[50:51], v[56:57], -v[50:51]
	v_mul_u32_u24_sdwa v62, v111, v0 dst_sel:DWORD dst_unused:UNUSED_PAD src0_sel:WORD_0 src1_sel:DWORD
	v_or_b32_e32 v63, v1, v109
	v_add_f64 v[16:17], v[58:59], -v[24:25]
	v_add_f64 v[18:19], v[60:61], -v[26:27]
	v_mul_lo_u16 v24, v110, 12
	v_fma_f64 v[26:27], v[40:41], 2.0, -v[22:23]
	v_fma_f64 v[40:41], v[10:11], 2.0, -v[36:37]
	v_and_b32_e32 v10, 0xff, v63
	v_or_b32_e32 v64, v24, v112
	v_fma_f64 v[24:25], v[2:3], 2.0, -v[20:21]
	v_fma_f64 v[0:1], v[32:33], 2.0, -v[12:13]
	;; [unrolled: 1-line block ×6, first 2 shown]
	v_and_b32_e32 v11, 0xff, v64
	v_fma_f64 v[28:29], v[46:47], 2.0, -v[48:49]
	v_fma_f64 v[30:31], v[56:57], 2.0, -v[50:51]
	v_or_b32_sdwa v54, v62, v113 dst_sel:DWORD dst_unused:UNUSED_PAD src0_sel:DWORD src1_sel:BYTE_0
	v_lshl_add_u32 v10, v10, 4, v107
	v_lshl_add_u32 v11, v11, 4, v107
	v_fma_f64 v[44:45], v[58:59], 2.0, -v[16:17]
	v_fma_f64 v[46:47], v[60:61], 2.0, -v[18:19]
	v_lshl_add_u32 v54, v54, 4, v107
	ds_write_b128 v10, v[20:23] offset:144
	ds_write_b128 v10, v[24:27] offset:48
	;; [unrolled: 1-line block ×3, first 2 shown]
	ds_write_b128 v10, v[0:3]
	ds_write_b128 v11, v[28:31]
	ds_write_b128 v11, v[40:43] offset:48
	ds_write_b128 v11, v[48:51] offset:96
	;; [unrolled: 1-line block ×3, first 2 shown]
	ds_write_b128 v54, v[44:47]
	ds_write_b128 v54, v[32:35] offset:48
	ds_write_b128 v54, v[16:19] offset:96
	;; [unrolled: 1-line block ×3, first 2 shown]
	s_waitcnt lgkmcnt(0)
	s_barrier
	buffer_gl0_inv
                                        ; implicit-def: $vgpr10_vgpr11
	s_and_saveexec_b32 s1, s0
	s_cbranch_execnz .LBB0_15
; %bb.13:
	s_or_b32 exec_lo, exec_lo, s1
	s_and_b32 s0, vcc_lo, s0
	s_and_saveexec_b32 s1, s0
	s_cbranch_execnz .LBB0_16
.LBB0_14:
	s_endpgm
.LBB0_15:
	ds_read_b128 v[0:3], v9
	ds_read_b128 v[24:27], v8 offset:192
	ds_read_b128 v[12:15], v8 offset:384
	;; [unrolled: 1-line block ×12, first 2 shown]
	s_or_b32 exec_lo, exec_lo, s1
	s_and_b32 s0, vcc_lo, s0
	s_and_saveexec_b32 s1, s0
	s_cbranch_execz .LBB0_14
.LBB0_16:
	v_mul_u32_u24_e32 v54, 12, v94
	v_add_co_u32 v95, vcc_lo, s12, v52
	v_add_co_ci_u32_e32 v96, vcc_lo, s13, v53, vcc_lo
	v_lshlrev_b32_e32 v82, 4, v54
	s_mov_b32 s11, 0x3fddbe06
	s_mov_b32 s10, 0x4267c47c
	;; [unrolled: 1-line block ×4, first 2 shown]
	s_clause 0x4
	global_load_dwordx4 v[54:57], v82, s[8:9] offset:224
	global_load_dwordx4 v[58:61], v82, s[8:9] offset:240
	;; [unrolled: 1-line block ×5, first 2 shown]
	s_mov_b32 s7, 0xbfea55e2
	s_mov_b32 s0, 0x1ea71119
	;; [unrolled: 1-line block ×18, first 2 shown]
	v_add_nc_u32_e32 v105, 12, v94
	s_mov_b32 s31, 0x3fcea1e5
	s_mov_b32 s30, s24
	;; [unrolled: 1-line block ×4, first 2 shown]
	global_load_dwordx4 v[78:81], v82, s[8:9] offset:288
	s_waitcnt vmcnt(5) lgkmcnt(6)
	v_mul_f64 v[70:71], v[50:51], v[56:57]
	v_mul_f64 v[56:57], v[48:49], v[56:57]
	v_fma_f64 v[48:49], v[48:49], v[54:55], v[70:71]
	global_load_dwordx4 v[70:73], v82, s[8:9] offset:192
	v_fma_f64 v[50:51], v[50:51], v[54:55], -v[56:57]
	s_waitcnt vmcnt(5) lgkmcnt(5)
	v_mul_f64 v[54:55], v[38:39], v[60:61]
	v_mul_f64 v[56:57], v[36:37], v[60:61]
	v_fma_f64 v[36:37], v[36:37], v[58:59], v[54:55]
	v_fma_f64 v[38:39], v[38:39], v[58:59], -v[56:57]
	global_load_dwordx4 v[58:61], v82, s[8:9] offset:272
	s_waitcnt vmcnt(5)
	v_mul_f64 v[54:55], v[42:43], v[64:65]
	v_mul_f64 v[56:57], v[40:41], v[64:65]
	v_fma_f64 v[40:41], v[40:41], v[62:63], v[54:55]
	v_fma_f64 v[54:55], v[42:43], v[62:63], -v[56:57]
	global_load_dwordx4 v[62:65], v82, s[8:9] offset:176
	s_waitcnt vmcnt(5) lgkmcnt(4)
	v_mul_f64 v[42:43], v[46:47], v[68:69]
	v_mul_f64 v[56:57], v[44:45], v[68:69]
	v_fma_f64 v[42:43], v[44:45], v[66:67], v[42:43]
	v_fma_f64 v[46:47], v[46:47], v[66:67], -v[56:57]
	s_waitcnt vmcnt(2)
	v_mul_f64 v[44:45], v[30:31], v[72:73]
	v_mul_f64 v[56:57], v[28:29], v[72:73]
	v_add_f64 v[72:73], v[40:41], -v[42:43]
	v_fma_f64 v[28:29], v[28:29], v[70:71], v[44:45]
	v_fma_f64 v[30:31], v[30:31], v[70:71], -v[56:57]
	global_load_dwordx4 v[68:71], v82, s[8:9] offset:160
	v_mul_f64 v[99:100], v[72:73], s[16:17]
	s_waitcnt vmcnt(2) lgkmcnt(3)
	v_mul_f64 v[44:45], v[34:35], v[60:61]
	v_mul_f64 v[60:61], v[32:33], v[60:61]
	v_fma_f64 v[56:57], v[32:33], v[58:59], v[44:45]
	v_fma_f64 v[66:67], v[34:35], v[58:59], -v[60:61]
	v_mul_f64 v[44:45], v[24:25], v[76:77]
	s_waitcnt vmcnt(1)
	v_mul_f64 v[32:33], v[22:23], v[64:65]
	v_mul_f64 v[34:35], v[20:21], v[64:65]
	s_waitcnt lgkmcnt(2)
	v_mul_f64 v[58:59], v[18:19], v[80:81]
	v_fma_f64 v[64:65], v[26:27], v[74:75], -v[44:45]
	v_fma_f64 v[60:61], v[20:21], v[62:63], v[32:33]
	v_fma_f64 v[32:33], v[22:23], v[62:63], -v[34:35]
	global_load_dwordx4 v[20:23], v82, s[8:9] offset:304
	v_mul_f64 v[34:35], v[26:27], v[76:77]
	v_add_f64 v[76:77], v[50:51], v[38:39]
	v_fma_f64 v[62:63], v[24:25], v[74:75], v[34:35]
	global_load_dwordx4 v[24:27], v82, s[8:9] offset:320
	v_add_f64 v[74:75], v[30:31], v[66:67]
	s_mov_b32 s8, 0x42a4c3d2
	s_mov_b32 s9, 0x3fea55e2
	;; [unrolled: 1-line block ×3, first 2 shown]
	s_waitcnt vmcnt(2)
	v_mul_f64 v[34:35], v[14:15], v[70:71]
	v_mul_f64 v[44:45], v[12:13], v[70:71]
	v_fma_f64 v[12:13], v[12:13], v[68:69], v[34:35]
	v_fma_f64 v[14:15], v[14:15], v[68:69], -v[44:45]
	v_add_f64 v[34:35], v[2:3], v[64:65]
	v_add_f64 v[44:45], v[0:1], v[62:63]
	v_mul_f64 v[68:69], v[16:17], v[80:81]
	v_fma_f64 v[16:17], v[16:17], v[78:79], v[58:59]
	v_add_f64 v[34:35], v[14:15], v[34:35]
	v_add_f64 v[44:45], v[12:13], v[44:45]
	v_fma_f64 v[18:19], v[18:19], v[78:79], -v[68:69]
	v_mad_u64_u32 v[68:69], null, s2, v94, 0
	s_waitcnt vmcnt(1) lgkmcnt(1)
	v_mul_f64 v[58:59], v[4:5], v[22:23]
	v_add_f64 v[34:35], v[32:33], v[34:35]
	v_add_f64 v[44:45], v[60:61], v[44:45]
	;; [unrolled: 1-line block ×4, first 2 shown]
	v_add_f64 v[30:31], v[30:31], -v[66:67]
	v_add_f64 v[34:35], v[54:55], v[34:35]
	v_add_f64 v[44:45], v[40:41], v[44:45]
	;; [unrolled: 1-line block ×8, first 2 shown]
	v_mul_f64 v[44:45], v[6:7], v[22:23]
	v_add_f64 v[22:23], v[66:67], v[34:35]
	v_add_f64 v[34:35], v[56:57], v[70:71]
	v_fma_f64 v[78:79], v[4:5], v[20:21], v[44:45]
	s_waitcnt vmcnt(0) lgkmcnt(0)
	v_mul_f64 v[4:5], v[10:11], v[26:27]
	v_fma_f64 v[20:21], v[6:7], v[20:21], -v[58:59]
	v_mul_f64 v[6:7], v[8:9], v[26:27]
	v_add_f64 v[58:59], v[60:61], -v[16:17]
	v_add_f64 v[22:23], v[18:19], v[22:23]
	v_add_f64 v[26:27], v[16:17], v[34:35]
	v_mad_u64_u32 v[34:35], null, s3, v94, v[69:70]
	v_fma_f64 v[8:9], v[8:9], v[24:25], v[4:5]
	v_fma_f64 v[10:11], v[10:11], v[24:25], -v[6:7]
	v_add_f64 v[70:71], v[28:29], -v[56:57]
	v_add_f64 v[52:53], v[12:13], -v[78:79]
	;; [unrolled: 1-line block ×4, first 2 shown]
	v_mov_b32_e32 v69, v34
	v_add_f64 v[50:51], v[48:49], -v[36:37]
	v_add_f64 v[38:39], v[28:29], v[56:57]
	v_lshlrev_b64 v[34:35], 4, v[68:69]
	v_add_f64 v[68:69], v[54:55], v[46:47]
	v_add_co_u32 v80, vcc_lo, v95, v34
	v_add_f64 v[4:5], v[20:21], v[22:23]
	v_add_f64 v[22:23], v[78:79], v[26:27]
	v_add_co_ci_u32_e32 v81, vcc_lo, v96, v35, vcc_lo
	v_add_f64 v[26:27], v[54:55], -v[46:47]
	v_add_f64 v[34:35], v[32:33], -v[18:19]
	v_add_f64 v[54:55], v[32:33], v[18:19]
	v_add_f64 v[18:19], v[62:63], -v[8:9]
	v_add_f64 v[46:47], v[14:15], v[20:21]
	v_add_f64 v[86:87], v[64:65], v[10:11]
	;; [unrolled: 1-line block ×6, first 2 shown]
	v_mul_f64 v[16:17], v[52:53], s[10:11]
	v_mul_f64 v[88:89], v[44:45], s[10:11]
	;; [unrolled: 1-line block ×8, first 2 shown]
	v_add_f64 v[6:7], v[10:11], v[4:5]
	v_add_f64 v[4:5], v[8:9], v[22:23]
	;; [unrolled: 1-line block ×3, first 2 shown]
	v_add_f64 v[10:11], v[64:65], -v[10:11]
	v_mul_f64 v[12:13], v[26:27], s[10:11]
	v_mul_f64 v[22:23], v[58:59], s[10:11]
	v_mul_f64 v[20:21], v[34:35], s[10:11]
	v_mul_f64 v[62:63], v[70:71], s[10:11]
	v_mul_f64 v[64:65], v[50:51], s[10:11]
	s_mov_b32 s11, 0xbfddbe06
	v_mul_f64 v[103:104], v[50:51], s[24:25]
	v_mul_f64 v[90:91], v[18:19], s[10:11]
	v_fma_f64 v[66:67], v[48:49], s[0:1], v[56:57]
	global_store_dwordx4 v[80:81], v[4:7], off
	v_fma_f64 v[6:7], v[46:47], s[0:1], -v[60:61]
	v_mul_f64 v[97:98], v[10:11], s[10:11]
	s_mov_b32 s10, 0x66966769
	s_mov_b32 s11, 0x3fefc445
	;; [unrolled: 1-line block ×3, first 2 shown]
	v_mul_f64 v[117:118], v[10:11], s[16:17]
	v_mul_f64 v[84:85], v[58:59], s[26:27]
	;; [unrolled: 1-line block ×4, first 2 shown]
	v_fma_f64 v[4:5], v[86:87], s[4:5], -v[90:91]
	v_mul_f64 v[141:142], v[50:51], s[10:11]
	v_mul_f64 v[143:144], v[24:25], s[10:11]
	v_fma_f64 v[125:126], v[8:9], s[14:15], -v[117:118]
	v_fma_f64 v[117:118], v[8:9], s[14:15], v[117:118]
	v_fma_f64 v[127:128], v[8:9], s[18:19], -v[119:120]
	v_fma_f64 v[119:120], v[8:9], s[18:19], v[119:120]
	v_add_f64 v[4:5], v[2:3], v[4:5]
	v_fma_f64 v[129:130], v[8:9], s[12:13], -v[121:122]
	v_fma_f64 v[121:122], v[8:9], s[12:13], v[121:122]
	v_add_f64 v[117:118], v[0:1], v[117:118]
	v_add_f64 v[127:128], v[0:1], v[127:128]
	;; [unrolled: 1-line block ×4, first 2 shown]
	v_fma_f64 v[6:7], v[8:9], s[4:5], v[97:98]
	v_add_f64 v[129:130], v[0:1], v[129:130]
	v_add_f64 v[121:122], v[0:1], v[121:122]
	;; [unrolled: 1-line block ×4, first 2 shown]
	v_fma_f64 v[66:67], v[54:55], s[12:13], -v[84:85]
	v_add_f64 v[4:5], v[66:67], v[4:5]
	v_mul_f64 v[66:67], v[34:35], s[26:27]
	v_fma_f64 v[78:79], v[42:43], s[12:13], v[66:67]
	v_add_f64 v[6:7], v[78:79], v[6:7]
	v_fma_f64 v[78:79], v[74:75], s[18:19], -v[92:93]
	v_add_f64 v[4:5], v[78:79], v[4:5]
	v_mul_f64 v[78:79], v[30:31], s[22:23]
	v_fma_f64 v[80:81], v[38:39], s[18:19], v[78:79]
	v_add_f64 v[6:7], v[80:81], v[6:7]
	;; [unrolled: 5-line block ×3, first 2 shown]
	v_fma_f64 v[6:7], v[76:77], s[20:21], -v[103:104]
	v_mul_f64 v[82:83], v[24:25], s[24:25]
	v_add_f64 v[6:7], v[6:7], v[4:5]
	v_fma_f64 v[4:5], v[32:33], s[20:21], v[82:83]
	v_add_f64 v[4:5], v[4:5], v[101:102]
	v_mad_u64_u32 v[101:102], null, s2, v105, 0
	v_mad_u64_u32 v[105:106], null, s3, v105, v[102:103]
	v_mov_b32_e32 v102, v105
	v_mul_f64 v[105:106], v[18:19], s[26:27]
	v_lshlrev_b64 v[101:102], 4, v[101:102]
	v_add_co_u32 v101, vcc_lo, v95, v101
	v_add_co_ci_u32_e32 v102, vcc_lo, v96, v102, vcc_lo
	global_store_dwordx4 v[101:102], v[4:7], off
	v_mul_f64 v[4:5], v[18:19], s[24:25]
	v_mul_f64 v[6:7], v[18:19], s[16:17]
	;; [unrolled: 1-line block ×4, first 2 shown]
	v_fma_f64 v[113:114], v[86:87], s[12:13], v[105:106]
	v_fma_f64 v[105:106], v[86:87], s[12:13], -v[105:106]
	v_fma_f64 v[107:108], v[86:87], s[20:21], v[4:5]
	v_fma_f64 v[4:5], v[86:87], s[20:21], -v[4:5]
	;; [unrolled: 2-line block ×5, first 2 shown]
	v_fma_f64 v[86:87], v[86:87], s[4:5], v[90:91]
	v_mul_f64 v[90:91], v[10:11], s[24:25]
	v_mul_f64 v[10:11], v[10:11], s[6:7]
	v_add_f64 v[113:114], v[2:3], v[113:114]
	v_add_f64 v[105:106], v[2:3], v[105:106]
	;; [unrolled: 1-line block ×9, first 2 shown]
	v_fma_f64 v[123:124], v[8:9], s[20:21], -v[90:91]
	v_fma_f64 v[90:91], v[8:9], s[20:21], v[90:91]
	v_fma_f64 v[131:132], v[8:9], s[0:1], -v[10:11]
	v_fma_f64 v[10:11], v[8:9], s[0:1], v[10:11]
	v_fma_f64 v[8:9], v[8:9], s[4:5], -v[97:98]
	v_add_f64 v[97:98], v[2:3], v[107:108]
	v_add_f64 v[107:108], v[0:1], v[123:124]
	;; [unrolled: 1-line block ×8, first 2 shown]
	v_fma_f64 v[0:1], v[46:47], s[4:5], v[16:17]
	v_mul_f64 v[6:7], v[58:59], s[16:17]
	v_fma_f64 v[2:3], v[48:49], s[4:5], -v[88:89]
	v_fma_f64 v[16:17], v[46:47], s[4:5], -v[16:17]
	v_add_f64 v[0:1], v[0:1], v[97:98]
	v_fma_f64 v[8:9], v[54:55], s[14:15], v[6:7]
	v_add_f64 v[2:3], v[2:3], v[107:108]
	v_add_f64 v[4:5], v[16:17], v[4:5]
	v_fma_f64 v[16:17], v[48:49], s[4:5], v[88:89]
	v_fma_f64 v[6:7], v[54:55], s[14:15], -v[6:7]
	v_add_f64 v[0:1], v[8:9], v[0:1]
	v_mul_f64 v[8:9], v[34:35], s[16:17]
	v_add_f64 v[16:17], v[16:17], v[90:91]
	v_add_f64 v[4:5], v[6:7], v[4:5]
	v_fma_f64 v[10:11], v[42:43], s[14:15], -v[8:9]
	v_fma_f64 v[6:7], v[42:43], s[14:15], v[8:9]
	v_add_f64 v[2:3], v[10:11], v[2:3]
	v_mul_f64 v[10:11], v[70:71], s[8:9]
	v_add_f64 v[6:7], v[6:7], v[16:17]
	v_mul_f64 v[16:17], v[52:53], s[10:11]
	v_fma_f64 v[18:19], v[74:75], s[0:1], v[10:11]
	v_fma_f64 v[8:9], v[74:75], s[0:1], -v[10:11]
	v_fma_f64 v[10:11], v[32:33], s[12:13], v[143:144]
	v_add_f64 v[0:1], v[18:19], v[0:1]
	v_mul_f64 v[18:19], v[30:31], s[8:9]
	v_add_f64 v[4:5], v[8:9], v[4:5]
	v_fma_f64 v[86:87], v[38:39], s[0:1], -v[18:19]
	v_fma_f64 v[8:9], v[38:39], s[0:1], v[18:19]
	v_mul_f64 v[18:19], v[44:45], s[10:11]
	v_add_f64 v[2:3], v[86:87], v[2:3]
	v_mul_f64 v[86:87], v[72:73], s[22:23]
	v_add_f64 v[6:7], v[8:9], v[6:7]
	v_fma_f64 v[97:98], v[68:69], s[18:19], v[86:87]
	v_fma_f64 v[8:9], v[68:69], s[18:19], -v[86:87]
	v_mul_f64 v[86:87], v[58:59], s[6:7]
	v_add_f64 v[0:1], v[97:98], v[0:1]
	v_mul_f64 v[97:98], v[26:27], s[22:23]
	v_add_f64 v[4:5], v[8:9], v[4:5]
	v_fma_f64 v[88:89], v[54:55], s[0:1], v[86:87]
	v_fma_f64 v[86:87], v[54:55], s[0:1], -v[86:87]
	v_fma_f64 v[8:9], v[36:37], s[18:19], v[97:98]
	v_fma_f64 v[107:108], v[36:37], s[18:19], -v[97:98]
	v_add_f64 v[8:9], v[8:9], v[6:7]
	v_fma_f64 v[6:7], v[76:77], s[12:13], -v[141:142]
	v_add_f64 v[107:108], v[107:108], v[2:3]
	v_fma_f64 v[2:3], v[76:77], s[12:13], v[141:142]
	v_add_f64 v[6:7], v[6:7], v[4:5]
	v_add_f64 v[4:5], v[10:11], v[8:9]
	v_fma_f64 v[8:9], v[46:47], s[12:13], v[16:17]
	v_fma_f64 v[10:11], v[48:49], s[12:13], -v[18:19]
	v_fma_f64 v[16:17], v[46:47], s[12:13], -v[16:17]
	v_fma_f64 v[18:19], v[48:49], s[12:13], v[18:19]
	v_add_f64 v[2:3], v[2:3], v[0:1]
	v_fma_f64 v[0:1], v[32:33], s[12:13], -v[143:144]
	v_add_f64 v[8:9], v[8:9], v[109:110]
	v_add_f64 v[10:11], v[10:11], v[123:124]
	;; [unrolled: 1-line block ×4, first 2 shown]
	v_mul_f64 v[109:110], v[50:51], s[22:23]
	v_add_f64 v[0:1], v[0:1], v[107:108]
	v_mul_f64 v[123:124], v[24:25], s[22:23]
	v_mul_f64 v[117:118], v[50:51], s[8:9]
	v_mul_f64 v[50:51], v[50:51], s[16:17]
	v_add_f64 v[8:9], v[88:89], v[8:9]
	v_mul_f64 v[88:89], v[34:35], s[6:7]
	v_add_f64 v[16:17], v[86:87], v[16:17]
	v_fma_f64 v[90:91], v[42:43], s[0:1], -v[88:89]
	v_fma_f64 v[86:87], v[42:43], s[0:1], v[88:89]
	v_mul_f64 v[88:89], v[44:45], s[28:29]
	v_add_f64 v[10:11], v[90:91], v[10:11]
	v_mul_f64 v[90:91], v[70:71], s[30:31]
	v_add_f64 v[18:19], v[86:87], v[18:19]
	v_fma_f64 v[97:98], v[74:75], s[20:21], v[90:91]
	v_fma_f64 v[86:87], v[74:75], s[20:21], -v[90:91]
	v_fma_f64 v[90:91], v[54:55], s[4:5], v[22:23]
	v_fma_f64 v[22:23], v[54:55], s[4:5], -v[22:23]
	v_add_f64 v[8:9], v[97:98], v[8:9]
	v_mul_f64 v[97:98], v[30:31], s[30:31]
	v_add_f64 v[16:17], v[86:87], v[16:17]
	v_fma_f64 v[107:108], v[38:39], s[20:21], -v[97:98]
	v_fma_f64 v[86:87], v[38:39], s[20:21], v[97:98]
	v_add_f64 v[10:11], v[107:108], v[10:11]
	v_fma_f64 v[107:108], v[68:69], s[4:5], v[14:15]
	v_fma_f64 v[14:15], v[68:69], s[4:5], -v[14:15]
	v_add_f64 v[18:19], v[86:87], v[18:19]
	v_mul_f64 v[86:87], v[52:53], s[28:29]
	v_add_f64 v[8:9], v[107:108], v[8:9]
	v_fma_f64 v[107:108], v[36:37], s[4:5], -v[12:13]
	v_add_f64 v[14:15], v[14:15], v[16:17]
	v_fma_f64 v[12:13], v[36:37], s[4:5], v[12:13]
	v_fma_f64 v[16:17], v[76:77], s[18:19], -v[109:110]
	v_add_f64 v[107:108], v[107:108], v[10:11]
	v_fma_f64 v[10:11], v[76:77], s[18:19], v[109:110]
	v_add_f64 v[12:13], v[12:13], v[18:19]
	v_fma_f64 v[18:19], v[32:33], s[18:19], v[123:124]
	;; [unrolled: 2-line block ×3, first 2 shown]
	v_fma_f64 v[86:87], v[46:47], s[14:15], -v[86:87]
	v_add_f64 v[10:11], v[10:11], v[8:9]
	v_fma_f64 v[8:9], v[32:33], s[18:19], -v[123:124]
	v_add_f64 v[12:13], v[18:19], v[12:13]
	;; [unrolled: 2-line block ×3, first 2 shown]
	v_add_f64 v[86:87], v[86:87], v[101:102]
	v_fma_f64 v[88:89], v[48:49], s[14:15], v[88:89]
	v_mul_f64 v[123:124], v[24:25], s[8:9]
	s_mov_b32 s9, 0x3fedeba7
	s_mov_b32 s8, s22
	v_mul_f64 v[24:25], v[24:25], s[16:17]
	v_add_f64 v[8:9], v[8:9], v[107:108]
	v_add_f64 v[18:19], v[18:19], v[127:128]
	;; [unrolled: 1-line block ×3, first 2 shown]
	v_fma_f64 v[90:91], v[42:43], s[4:5], -v[20:21]
	v_add_f64 v[88:89], v[88:89], v[119:120]
	v_add_f64 v[22:23], v[22:23], v[86:87]
	v_fma_f64 v[20:21], v[42:43], s[4:5], v[20:21]
	v_add_f64 v[18:19], v[90:91], v[18:19]
	v_mul_f64 v[90:91], v[70:71], s[26:27]
	v_mul_f64 v[70:71], v[70:71], s[28:29]
	v_add_f64 v[20:21], v[20:21], v[88:89]
	v_fma_f64 v[88:89], v[32:33], s[0:1], v[123:124]
	v_fma_f64 v[97:98], v[74:75], s[12:13], v[90:91]
	v_fma_f64 v[86:87], v[74:75], s[12:13], -v[90:91]
	v_fma_f64 v[90:91], v[76:77], s[14:15], v[50:51]
	v_add_f64 v[16:17], v[97:98], v[16:17]
	v_mul_f64 v[97:98], v[30:31], s[26:27]
	v_add_f64 v[22:23], v[86:87], v[22:23]
	v_mul_f64 v[30:31], v[30:31], s[28:29]
	v_fma_f64 v[107:108], v[38:39], s[12:13], -v[97:98]
	v_fma_f64 v[86:87], v[38:39], s[12:13], v[97:98]
	v_add_f64 v[18:19], v[107:108], v[18:19]
	v_mul_f64 v[107:108], v[72:73], s[30:31]
	v_add_f64 v[20:21], v[86:87], v[20:21]
	v_fma_f64 v[109:110], v[68:69], s[20:21], v[107:108]
	v_fma_f64 v[86:87], v[68:69], s[20:21], -v[107:108]
	v_add_f64 v[16:17], v[109:110], v[16:17]
	v_mul_f64 v[109:110], v[26:27], s[30:31]
	v_add_f64 v[22:23], v[86:87], v[22:23]
	v_fma_f64 v[86:87], v[36:37], s[20:21], v[109:110]
	v_fma_f64 v[111:112], v[36:37], s[20:21], -v[109:110]
	v_add_f64 v[20:21], v[86:87], v[20:21]
	v_fma_f64 v[86:87], v[76:77], s[0:1], -v[117:118]
	v_add_f64 v[111:112], v[111:112], v[18:19]
	v_fma_f64 v[18:19], v[76:77], s[0:1], v[117:118]
	v_add_f64 v[20:21], v[88:89], v[20:21]
	v_add_f64 v[22:23], v[86:87], v[22:23]
	v_fma_f64 v[88:89], v[76:77], s[14:15], -v[50:51]
	v_fma_f64 v[86:87], v[76:77], s[4:5], v[64:65]
	v_fma_f64 v[64:65], v[76:77], s[4:5], -v[64:65]
	v_fma_f64 v[50:51], v[76:77], s[20:21], v[103:104]
	v_mul_f64 v[76:77], v[72:73], s[6:7]
	v_mul_f64 v[72:73], v[72:73], s[10:11]
	v_fma_f64 v[103:104], v[74:75], s[14:15], v[70:71]
	v_fma_f64 v[70:71], v[74:75], s[14:15], -v[70:71]
	v_add_f64 v[18:19], v[18:19], v[16:17]
	v_fma_f64 v[16:17], v[32:33], s[0:1], -v[123:124]
	v_fma_f64 v[97:98], v[68:69], s[0:1], v[76:77]
	v_fma_f64 v[76:77], v[68:69], s[0:1], -v[76:77]
	v_fma_f64 v[101:102], v[68:69], s[12:13], v[72:73]
	;; [unrolled: 2-line block ×3, first 2 shown]
	v_fma_f64 v[99:100], v[74:75], s[4:5], v[62:63]
	v_fma_f64 v[62:63], v[74:75], s[4:5], -v[62:63]
	v_fma_f64 v[74:75], v[74:75], s[18:19], v[92:93]
	v_mul_f64 v[92:93], v[58:59], s[8:9]
	v_mul_f64 v[58:59], v[58:59], s[24:25]
	v_add_f64 v[16:17], v[16:17], v[111:112]
	v_fma_f64 v[107:108], v[54:55], s[18:19], v[92:93]
	v_fma_f64 v[92:93], v[54:55], s[18:19], -v[92:93]
	v_fma_f64 v[109:110], v[54:55], s[20:21], v[58:59]
	v_fma_f64 v[58:59], v[54:55], s[20:21], -v[58:59]
	v_fma_f64 v[54:55], v[54:55], s[12:13], v[84:85]
	v_mul_f64 v[84:85], v[52:53], s[24:25]
	v_mul_f64 v[52:53], v[52:53], s[22:23]
	v_fma_f64 v[111:112], v[46:47], s[20:21], v[84:85]
	v_fma_f64 v[84:85], v[46:47], s[20:21], -v[84:85]
	v_fma_f64 v[117:118], v[46:47], s[18:19], v[52:53]
	v_fma_f64 v[52:53], v[46:47], s[18:19], -v[52:53]
	v_fma_f64 v[46:47], v[46:47], s[0:1], v[60:61]
	v_mul_f64 v[60:61], v[44:45], s[24:25]
	v_mul_f64 v[44:45], v[44:45], s[22:23]
	v_add_f64 v[52:53], v[52:53], v[133:134]
	v_add_f64 v[46:47], v[46:47], v[137:138]
	v_fma_f64 v[119:120], v[48:49], s[20:21], -v[60:61]
	v_fma_f64 v[60:61], v[48:49], s[20:21], v[60:61]
	v_fma_f64 v[123:124], v[48:49], s[18:19], -v[44:45]
	v_fma_f64 v[44:45], v[48:49], s[18:19], v[44:45]
	v_fma_f64 v[48:49], v[48:49], s[0:1], -v[56:57]
	v_add_f64 v[56:57], v[111:112], v[113:114]
	v_mul_f64 v[113:114], v[34:35], s[8:9]
	v_mul_f64 v[34:35], v[34:35], s[24:25]
	v_add_f64 v[52:53], v[58:59], v[52:53]
	v_add_f64 v[111:112], v[119:120], v[129:130]
	;; [unrolled: 1-line block ×6, first 2 shown]
	v_fma_f64 v[119:120], v[42:43], s[18:19], -v[113:114]
	v_fma_f64 v[125:126], v[42:43], s[20:21], -v[34:35]
	v_fma_f64 v[34:35], v[42:43], s[20:21], v[34:35]
	v_fma_f64 v[113:114], v[42:43], s[18:19], v[113:114]
	v_fma_f64 v[42:43], v[42:43], s[12:13], -v[66:67]
	v_add_f64 v[66:67], v[84:85], v[105:106]
	v_add_f64 v[84:85], v[117:118], v[115:116]
	;; [unrolled: 1-line block ×3, first 2 shown]
	v_fma_f64 v[115:116], v[38:39], s[14:15], -v[30:31]
	v_fma_f64 v[30:31], v[38:39], s[14:15], v[30:31]
	v_add_f64 v[52:53], v[70:71], v[52:53]
	v_fma_f64 v[70:71], v[32:33], s[4:5], v[28:29]
	v_add_f64 v[107:108], v[119:120], v[111:112]
	v_fma_f64 v[111:112], v[38:39], s[4:5], -v[40:41]
	v_add_f64 v[34:35], v[34:35], v[44:45]
	v_add_f64 v[44:45], v[54:55], v[46:47]
	v_mul_f64 v[54:55], v[26:27], s[6:7]
	v_fma_f64 v[40:41], v[38:39], s[4:5], v[40:41]
	v_fma_f64 v[38:39], v[38:39], s[18:19], -v[78:79]
	v_add_f64 v[66:67], v[92:93], v[66:67]
	v_add_f64 v[60:61], v[113:114], v[60:61]
	;; [unrolled: 1-line block ×4, first 2 shown]
	v_mul_f64 v[26:27], v[26:27], s[10:11]
	v_add_f64 v[42:43], v[42:43], v[48:49]
	v_add_f64 v[46:47], v[99:100], v[56:57]
	;; [unrolled: 1-line block ×3, first 2 shown]
	v_or_b32_e32 v92, 0x60, v94
	v_add_f64 v[48:49], v[111:112], v[107:108]
	v_add_f64 v[30:31], v[30:31], v[34:35]
	;; [unrolled: 1-line block ×3, first 2 shown]
	v_fma_f64 v[56:57], v[36:37], s[0:1], -v[54:55]
	v_fma_f64 v[54:55], v[36:37], s[0:1], v[54:55]
	v_add_f64 v[62:63], v[62:63], v[66:67]
	v_add_f64 v[60:61], v[40:41], v[60:61]
	;; [unrolled: 1-line block ×4, first 2 shown]
	v_fma_f64 v[58:59], v[36:37], s[12:13], -v[26:27]
	v_add_f64 v[38:39], v[38:39], v[42:43]
	v_add_f64 v[42:43], v[97:98], v[46:47]
	v_fma_f64 v[46:47], v[32:33], s[14:15], -v[24:25]
	v_fma_f64 v[26:27], v[36:37], s[12:13], v[26:27]
	v_fma_f64 v[40:41], v[32:33], s[20:21], -v[82:83]
	v_fma_f64 v[36:37], v[36:37], s[14:15], -v[80:81]
	v_add_nc_u32_e32 v80, 24, v94
	v_add_nc_u32_e32 v81, 36, v94
	v_or_b32_e32 v82, 48, v94
	v_add_nc_u32_e32 v83, 60, v94
	v_add_nc_u32_e32 v84, 0x48, v94
	;; [unrolled: 1-line block ×3, first 2 shown]
	v_mad_u64_u32 v[72:73], null, s2, v81, 0
	v_add_f64 v[44:45], v[56:57], v[48:49]
	v_fma_f64 v[48:49], v[32:33], s[14:15], v[24:25]
	v_fma_f64 v[56:57], v[32:33], s[4:5], -v[28:29]
	v_add_f64 v[28:29], v[76:77], v[62:63]
	v_add_f64 v[32:33], v[54:55], v[60:61]
	;; [unrolled: 1-line block ×5, first 2 shown]
	v_mad_u64_u32 v[68:69], null, s2, v80, 0
	v_mad_u64_u32 v[74:75], null, s2, v82, 0
	;; [unrolled: 1-line block ×3, first 2 shown]
	v_add_f64 v[60:61], v[26:27], v[30:31]
	v_mad_u64_u32 v[78:79], null, s2, v84, 0
	v_add_f64 v[26:27], v[90:91], v[42:43]
	v_add_f64 v[66:67], v[36:37], v[38:39]
	v_add_f64 v[38:39], v[64:65], v[52:53]
	v_add_f64 v[24:25], v[46:47], v[44:45]
	v_mov_b32_e32 v46, v69
	v_mov_b32_e32 v47, v73
	v_mad_u64_u32 v[44:45], null, s2, v92, 0
	v_add_f64 v[30:31], v[86:87], v[54:55]
	v_mad_u64_u32 v[54:55], null, s2, v85, 0
	v_add_f64 v[32:33], v[48:49], v[32:33]
	v_mov_b32_e32 v48, v75
	v_add_f64 v[42:43], v[50:51], v[62:63]
	v_mad_u64_u32 v[50:51], null, s3, v80, v[46:47]
	v_mov_b32_e32 v49, v77
	v_mad_u64_u32 v[51:52], null, s3, v81, v[47:48]
	v_mov_b32_e32 v46, v79
	v_mov_b32_e32 v47, v55
	v_add_f64 v[34:35], v[88:89], v[28:29]
	v_add_f64 v[28:29], v[56:57], v[58:59]
	v_mad_u64_u32 v[56:57], null, s3, v83, v[49:50]
	v_mad_u64_u32 v[57:58], null, s3, v84, v[46:47]
	;; [unrolled: 1-line block ×4, first 2 shown]
	v_add_nc_u32_e32 v48, 0x6c, v94
	v_mov_b32_e32 v69, v50
	v_mad_u64_u32 v[45:46], null, s3, v92, v[45:46]
	v_mov_b32_e32 v73, v51
	v_mad_u64_u32 v[46:47], null, s2, v48, 0
	v_mov_b32_e32 v77, v56
	v_mov_b32_e32 v79, v57
	v_lshlrev_b64 v[56:57], 4, v[68:69]
	v_add_f64 v[36:37], v[70:71], v[60:61]
	v_add_nc_u32_e32 v50, 0x78, v94
	v_mov_b32_e32 v75, v52
	v_mov_b32_e32 v55, v58
	v_lshlrev_b64 v[58:59], 4, v[72:73]
	v_mad_u64_u32 v[47:48], null, s3, v48, v[47:48]
	v_mad_u64_u32 v[48:49], null, s2, v50, 0
	v_lshlrev_b64 v[62:63], 4, v[74:75]
	v_lshlrev_b64 v[68:69], 4, v[54:55]
	v_add_co_u32 v54, vcc_lo, v95, v56
	v_add_co_ci_u32_e32 v55, vcc_lo, v96, v57, vcc_lo
	v_lshlrev_b64 v[64:65], 4, v[76:77]
	v_add_co_u32 v56, vcc_lo, v95, v58
	v_add_nc_u32_e32 v61, 0x84, v94
	v_or_b32_e32 v60, 0x90, v94
	v_add_co_ci_u32_e32 v57, vcc_lo, v96, v59, vcc_lo
	v_add_f64 v[40:41], v[40:41], v[66:67]
	v_lshlrev_b64 v[66:67], 4, v[78:79]
	v_add_co_u32 v58, vcc_lo, v95, v62
	v_mad_u64_u32 v[49:50], null, s3, v50, v[49:50]
	v_add_co_ci_u32_e32 v59, vcc_lo, v96, v63, vcc_lo
	v_mad_u64_u32 v[50:51], null, s2, v61, 0
	v_mad_u64_u32 v[52:53], null, s2, v60, 0
	v_add_co_u32 v62, vcc_lo, v95, v64
	v_add_co_ci_u32_e32 v63, vcc_lo, v96, v65, vcc_lo
	v_add_co_u32 v64, vcc_lo, v95, v66
	v_lshlrev_b64 v[44:45], 4, v[44:45]
	v_add_co_ci_u32_e32 v65, vcc_lo, v96, v67, vcc_lo
	v_add_co_u32 v66, vcc_lo, v95, v68
	v_add_co_ci_u32_e32 v67, vcc_lo, v96, v69, vcc_lo
	global_store_dwordx4 v[54:55], v[36:39], off
	global_store_dwordx4 v[56:57], v[32:35], off
	global_store_dwordx4 v[58:59], v[20:23], off
	global_store_dwordx4 v[62:63], v[12:15], off
	global_store_dwordx4 v[64:65], v[4:7], off
	global_store_dwordx4 v[66:67], v[0:3], off
	v_mad_u64_u32 v[0:1], null, s3, v61, v[51:52]
	v_mov_b32_e32 v1, v53
	v_add_co_u32 v2, vcc_lo, v95, v44
	v_lshlrev_b64 v[4:5], 4, v[46:47]
	v_lshlrev_b64 v[12:13], 4, v[48:49]
	v_add_co_ci_u32_e32 v3, vcc_lo, v96, v45, vcc_lo
	v_mad_u64_u32 v[6:7], null, s3, v60, v[1:2]
	v_mov_b32_e32 v51, v0
	v_add_co_u32 v0, vcc_lo, v95, v4
	v_add_co_ci_u32_e32 v1, vcc_lo, v96, v5, vcc_lo
	v_lshlrev_b64 v[4:5], 4, v[50:51]
	v_mov_b32_e32 v53, v6
	v_add_co_u32 v6, vcc_lo, v95, v12
	v_add_co_ci_u32_e32 v7, vcc_lo, v96, v13, vcc_lo
	v_lshlrev_b64 v[12:13], 4, v[52:53]
	v_add_co_u32 v4, vcc_lo, v95, v4
	v_add_co_ci_u32_e32 v5, vcc_lo, v96, v5, vcc_lo
	v_add_co_u32 v12, vcc_lo, v95, v12
	v_add_co_ci_u32_e32 v13, vcc_lo, v96, v13, vcc_lo
	global_store_dwordx4 v[2:3], v[8:11], off
	global_store_dwordx4 v[0:1], v[16:19], off
	;; [unrolled: 1-line block ×5, first 2 shown]
	s_endpgm
	.section	.rodata,"a",@progbits
	.p2align	6, 0x0
	.amdhsa_kernel fft_rtc_back_len156_factors_3_4_13_wgs_117_tpt_13_dp_ip_CI_sbrr_dirReg
		.amdhsa_group_segment_fixed_size 0
		.amdhsa_private_segment_fixed_size 0
		.amdhsa_kernarg_size 88
		.amdhsa_user_sgpr_count 6
		.amdhsa_user_sgpr_private_segment_buffer 1
		.amdhsa_user_sgpr_dispatch_ptr 0
		.amdhsa_user_sgpr_queue_ptr 0
		.amdhsa_user_sgpr_kernarg_segment_ptr 1
		.amdhsa_user_sgpr_dispatch_id 0
		.amdhsa_user_sgpr_flat_scratch_init 0
		.amdhsa_user_sgpr_private_segment_size 0
		.amdhsa_wavefront_size32 1
		.amdhsa_uses_dynamic_stack 0
		.amdhsa_system_sgpr_private_segment_wavefront_offset 0
		.amdhsa_system_sgpr_workgroup_id_x 1
		.amdhsa_system_sgpr_workgroup_id_y 0
		.amdhsa_system_sgpr_workgroup_id_z 0
		.amdhsa_system_sgpr_workgroup_info 0
		.amdhsa_system_vgpr_workitem_id 0
		.amdhsa_next_free_vgpr 145
		.amdhsa_next_free_sgpr 32
		.amdhsa_reserve_vcc 1
		.amdhsa_reserve_flat_scratch 0
		.amdhsa_float_round_mode_32 0
		.amdhsa_float_round_mode_16_64 0
		.amdhsa_float_denorm_mode_32 3
		.amdhsa_float_denorm_mode_16_64 3
		.amdhsa_dx10_clamp 1
		.amdhsa_ieee_mode 1
		.amdhsa_fp16_overflow 0
		.amdhsa_workgroup_processor_mode 1
		.amdhsa_memory_ordered 1
		.amdhsa_forward_progress 0
		.amdhsa_shared_vgpr_count 0
		.amdhsa_exception_fp_ieee_invalid_op 0
		.amdhsa_exception_fp_denorm_src 0
		.amdhsa_exception_fp_ieee_div_zero 0
		.amdhsa_exception_fp_ieee_overflow 0
		.amdhsa_exception_fp_ieee_underflow 0
		.amdhsa_exception_fp_ieee_inexact 0
		.amdhsa_exception_int_div_zero 0
	.end_amdhsa_kernel
	.text
.Lfunc_end0:
	.size	fft_rtc_back_len156_factors_3_4_13_wgs_117_tpt_13_dp_ip_CI_sbrr_dirReg, .Lfunc_end0-fft_rtc_back_len156_factors_3_4_13_wgs_117_tpt_13_dp_ip_CI_sbrr_dirReg
                                        ; -- End function
	.section	.AMDGPU.csdata,"",@progbits
; Kernel info:
; codeLenInByte = 8856
; NumSgprs: 34
; NumVgprs: 145
; ScratchSize: 0
; MemoryBound: 1
; FloatMode: 240
; IeeeMode: 1
; LDSByteSize: 0 bytes/workgroup (compile time only)
; SGPRBlocks: 4
; VGPRBlocks: 18
; NumSGPRsForWavesPerEU: 34
; NumVGPRsForWavesPerEU: 145
; Occupancy: 6
; WaveLimiterHint : 1
; COMPUTE_PGM_RSRC2:SCRATCH_EN: 0
; COMPUTE_PGM_RSRC2:USER_SGPR: 6
; COMPUTE_PGM_RSRC2:TRAP_HANDLER: 0
; COMPUTE_PGM_RSRC2:TGID_X_EN: 1
; COMPUTE_PGM_RSRC2:TGID_Y_EN: 0
; COMPUTE_PGM_RSRC2:TGID_Z_EN: 0
; COMPUTE_PGM_RSRC2:TIDIG_COMP_CNT: 0
	.text
	.p2alignl 6, 3214868480
	.fill 48, 4, 3214868480
	.type	__hip_cuid_5ba0c0b6cd063d2d,@object ; @__hip_cuid_5ba0c0b6cd063d2d
	.section	.bss,"aw",@nobits
	.globl	__hip_cuid_5ba0c0b6cd063d2d
__hip_cuid_5ba0c0b6cd063d2d:
	.byte	0                               ; 0x0
	.size	__hip_cuid_5ba0c0b6cd063d2d, 1

	.ident	"AMD clang version 19.0.0git (https://github.com/RadeonOpenCompute/llvm-project roc-6.4.0 25133 c7fe45cf4b819c5991fe208aaa96edf142730f1d)"
	.section	".note.GNU-stack","",@progbits
	.addrsig
	.addrsig_sym __hip_cuid_5ba0c0b6cd063d2d
	.amdgpu_metadata
---
amdhsa.kernels:
  - .args:
      - .actual_access:  read_only
        .address_space:  global
        .offset:         0
        .size:           8
        .value_kind:     global_buffer
      - .offset:         8
        .size:           8
        .value_kind:     by_value
      - .actual_access:  read_only
        .address_space:  global
        .offset:         16
        .size:           8
        .value_kind:     global_buffer
      - .actual_access:  read_only
        .address_space:  global
        .offset:         24
        .size:           8
        .value_kind:     global_buffer
      - .offset:         32
        .size:           8
        .value_kind:     by_value
      - .actual_access:  read_only
        .address_space:  global
        .offset:         40
        .size:           8
        .value_kind:     global_buffer
      - .actual_access:  read_only
        .address_space:  global
        .offset:         48
        .size:           8
        .value_kind:     global_buffer
      - .offset:         56
        .size:           4
        .value_kind:     by_value
      - .actual_access:  read_only
        .address_space:  global
        .offset:         64
        .size:           8
        .value_kind:     global_buffer
      - .actual_access:  read_only
        .address_space:  global
        .offset:         72
        .size:           8
        .value_kind:     global_buffer
      - .address_space:  global
        .offset:         80
        .size:           8
        .value_kind:     global_buffer
    .group_segment_fixed_size: 0
    .kernarg_segment_align: 8
    .kernarg_segment_size: 88
    .language:       OpenCL C
    .language_version:
      - 2
      - 0
    .max_flat_workgroup_size: 117
    .name:           fft_rtc_back_len156_factors_3_4_13_wgs_117_tpt_13_dp_ip_CI_sbrr_dirReg
    .private_segment_fixed_size: 0
    .sgpr_count:     34
    .sgpr_spill_count: 0
    .symbol:         fft_rtc_back_len156_factors_3_4_13_wgs_117_tpt_13_dp_ip_CI_sbrr_dirReg.kd
    .uniform_work_group_size: 1
    .uses_dynamic_stack: false
    .vgpr_count:     145
    .vgpr_spill_count: 0
    .wavefront_size: 32
    .workgroup_processor_mode: 1
amdhsa.target:   amdgcn-amd-amdhsa--gfx1030
amdhsa.version:
  - 1
  - 2
...

	.end_amdgpu_metadata
